;; amdgpu-corpus repo=ROCm/rocFFT kind=compiled arch=gfx906 opt=O3
	.text
	.amdgcn_target "amdgcn-amd-amdhsa--gfx906"
	.amdhsa_code_object_version 6
	.protected	fft_rtc_fwd_len1300_factors_10_10_13_wgs_130_tpt_130_dp_op_CI_CI_unitstride_sbrr_dirReg ; -- Begin function fft_rtc_fwd_len1300_factors_10_10_13_wgs_130_tpt_130_dp_op_CI_CI_unitstride_sbrr_dirReg
	.globl	fft_rtc_fwd_len1300_factors_10_10_13_wgs_130_tpt_130_dp_op_CI_CI_unitstride_sbrr_dirReg
	.p2align	8
	.type	fft_rtc_fwd_len1300_factors_10_10_13_wgs_130_tpt_130_dp_op_CI_CI_unitstride_sbrr_dirReg,@function
fft_rtc_fwd_len1300_factors_10_10_13_wgs_130_tpt_130_dp_op_CI_CI_unitstride_sbrr_dirReg: ; @fft_rtc_fwd_len1300_factors_10_10_13_wgs_130_tpt_130_dp_op_CI_CI_unitstride_sbrr_dirReg
; %bb.0:
	s_load_dwordx4 s[8:11], s[4:5], 0x58
	s_load_dwordx4 s[12:15], s[4:5], 0x0
	;; [unrolled: 1-line block ×3, first 2 shown]
	v_mul_u32_u24_e32 v1, 0x1f9, v0
	v_add_u32_sdwa v6, s6, v1 dst_sel:DWORD dst_unused:UNUSED_PAD src0_sel:DWORD src1_sel:WORD_1
	v_mov_b32_e32 v1, 0
	s_waitcnt lgkmcnt(0)
	v_cmp_lt_u64_e64 s[0:1], s[14:15], 2
	v_mov_b32_e32 v4, 0
	v_mov_b32_e32 v7, v1
	s_and_b64 vcc, exec, s[0:1]
	v_mov_b32_e32 v5, 0
	s_cbranch_vccnz .LBB0_8
; %bb.1:
	s_load_dwordx2 s[0:1], s[4:5], 0x10
	s_add_u32 s2, s18, 8
	s_addc_u32 s3, s19, 0
	s_add_u32 s6, s16, 8
	v_mov_b32_e32 v4, 0
	s_addc_u32 s7, s17, 0
	v_mov_b32_e32 v5, 0
	s_waitcnt lgkmcnt(0)
	s_add_u32 s20, s0, 8
	v_mov_b32_e32 v61, v5
	s_addc_u32 s21, s1, 0
	s_mov_b64 s[22:23], 1
	v_mov_b32_e32 v60, v4
.LBB0_2:                                ; =>This Inner Loop Header: Depth=1
	s_load_dwordx2 s[24:25], s[20:21], 0x0
                                        ; implicit-def: $vgpr63_vgpr64
	s_waitcnt lgkmcnt(0)
	v_or_b32_e32 v2, s25, v7
	v_cmp_ne_u64_e32 vcc, 0, v[1:2]
	s_and_saveexec_b64 s[0:1], vcc
	s_xor_b64 s[26:27], exec, s[0:1]
	s_cbranch_execz .LBB0_4
; %bb.3:                                ;   in Loop: Header=BB0_2 Depth=1
	v_cvt_f32_u32_e32 v2, s24
	v_cvt_f32_u32_e32 v3, s25
	s_sub_u32 s0, 0, s24
	s_subb_u32 s1, 0, s25
	v_mac_f32_e32 v2, 0x4f800000, v3
	v_rcp_f32_e32 v2, v2
	v_mul_f32_e32 v2, 0x5f7ffffc, v2
	v_mul_f32_e32 v3, 0x2f800000, v2
	v_trunc_f32_e32 v3, v3
	v_mac_f32_e32 v2, 0xcf800000, v3
	v_cvt_u32_f32_e32 v3, v3
	v_cvt_u32_f32_e32 v2, v2
	v_mul_lo_u32 v8, s0, v3
	v_mul_hi_u32 v9, s0, v2
	v_mul_lo_u32 v11, s1, v2
	v_mul_lo_u32 v10, s0, v2
	v_add_u32_e32 v8, v9, v8
	v_add_u32_e32 v8, v8, v11
	v_mul_hi_u32 v9, v2, v10
	v_mul_lo_u32 v11, v2, v8
	v_mul_hi_u32 v13, v2, v8
	v_mul_hi_u32 v12, v3, v10
	v_mul_lo_u32 v10, v3, v10
	v_mul_hi_u32 v14, v3, v8
	v_add_co_u32_e32 v9, vcc, v9, v11
	v_addc_co_u32_e32 v11, vcc, 0, v13, vcc
	v_mul_lo_u32 v8, v3, v8
	v_add_co_u32_e32 v9, vcc, v9, v10
	v_addc_co_u32_e32 v9, vcc, v11, v12, vcc
	v_addc_co_u32_e32 v10, vcc, 0, v14, vcc
	v_add_co_u32_e32 v8, vcc, v9, v8
	v_addc_co_u32_e32 v9, vcc, 0, v10, vcc
	v_add_co_u32_e32 v2, vcc, v2, v8
	v_addc_co_u32_e32 v3, vcc, v3, v9, vcc
	v_mul_lo_u32 v8, s0, v3
	v_mul_hi_u32 v9, s0, v2
	v_mul_lo_u32 v10, s1, v2
	v_mul_lo_u32 v11, s0, v2
	v_add_u32_e32 v8, v9, v8
	v_add_u32_e32 v8, v8, v10
	v_mul_lo_u32 v12, v2, v8
	v_mul_hi_u32 v13, v2, v11
	v_mul_hi_u32 v14, v2, v8
	v_mul_hi_u32 v10, v3, v11
	v_mul_lo_u32 v11, v3, v11
	v_mul_hi_u32 v9, v3, v8
	v_add_co_u32_e32 v12, vcc, v13, v12
	v_addc_co_u32_e32 v13, vcc, 0, v14, vcc
	v_mul_lo_u32 v8, v3, v8
	v_add_co_u32_e32 v11, vcc, v12, v11
	v_addc_co_u32_e32 v10, vcc, v13, v10, vcc
	v_addc_co_u32_e32 v9, vcc, 0, v9, vcc
	v_add_co_u32_e32 v8, vcc, v10, v8
	v_addc_co_u32_e32 v9, vcc, 0, v9, vcc
	v_add_co_u32_e32 v8, vcc, v2, v8
	v_addc_co_u32_e32 v9, vcc, v3, v9, vcc
	v_mad_u64_u32 v[2:3], s[0:1], v6, v9, 0
	v_mul_hi_u32 v10, v6, v8
	v_add_co_u32_e32 v10, vcc, v10, v2
	v_addc_co_u32_e32 v11, vcc, 0, v3, vcc
	v_mad_u64_u32 v[2:3], s[0:1], v7, v8, 0
	v_mad_u64_u32 v[8:9], s[0:1], v7, v9, 0
	v_add_co_u32_e32 v2, vcc, v10, v2
	v_addc_co_u32_e32 v2, vcc, v11, v3, vcc
	v_addc_co_u32_e32 v3, vcc, 0, v9, vcc
	v_add_co_u32_e32 v8, vcc, v2, v8
	v_addc_co_u32_e32 v9, vcc, 0, v3, vcc
	v_mul_lo_u32 v10, s25, v8
	v_mul_lo_u32 v11, s24, v9
	v_mad_u64_u32 v[2:3], s[0:1], s24, v8, 0
	v_add3_u32 v3, v3, v11, v10
	v_sub_u32_e32 v10, v7, v3
	v_mov_b32_e32 v11, s25
	v_sub_co_u32_e32 v2, vcc, v6, v2
	v_subb_co_u32_e64 v10, s[0:1], v10, v11, vcc
	v_subrev_co_u32_e64 v11, s[0:1], s24, v2
	v_subbrev_co_u32_e64 v10, s[0:1], 0, v10, s[0:1]
	v_cmp_le_u32_e64 s[0:1], s25, v10
	v_cndmask_b32_e64 v12, 0, -1, s[0:1]
	v_cmp_le_u32_e64 s[0:1], s24, v11
	v_cndmask_b32_e64 v11, 0, -1, s[0:1]
	v_cmp_eq_u32_e64 s[0:1], s25, v10
	v_cndmask_b32_e64 v10, v12, v11, s[0:1]
	v_add_co_u32_e64 v11, s[0:1], 2, v8
	v_addc_co_u32_e64 v12, s[0:1], 0, v9, s[0:1]
	v_add_co_u32_e64 v13, s[0:1], 1, v8
	v_addc_co_u32_e64 v14, s[0:1], 0, v9, s[0:1]
	v_subb_co_u32_e32 v3, vcc, v7, v3, vcc
	v_cmp_ne_u32_e64 s[0:1], 0, v10
	v_cmp_le_u32_e32 vcc, s25, v3
	v_cndmask_b32_e64 v10, v14, v12, s[0:1]
	v_cndmask_b32_e64 v12, 0, -1, vcc
	v_cmp_le_u32_e32 vcc, s24, v2
	v_cndmask_b32_e64 v2, 0, -1, vcc
	v_cmp_eq_u32_e32 vcc, s25, v3
	v_cndmask_b32_e32 v2, v12, v2, vcc
	v_cmp_ne_u32_e32 vcc, 0, v2
	v_cndmask_b32_e64 v2, v13, v11, s[0:1]
	v_cndmask_b32_e32 v64, v9, v10, vcc
	v_cndmask_b32_e32 v63, v8, v2, vcc
.LBB0_4:                                ;   in Loop: Header=BB0_2 Depth=1
	s_andn2_saveexec_b64 s[0:1], s[26:27]
	s_cbranch_execz .LBB0_6
; %bb.5:                                ;   in Loop: Header=BB0_2 Depth=1
	v_cvt_f32_u32_e32 v2, s24
	s_sub_i32 s26, 0, s24
	v_mov_b32_e32 v64, v1
	v_rcp_iflag_f32_e32 v2, v2
	v_mul_f32_e32 v2, 0x4f7ffffe, v2
	v_cvt_u32_f32_e32 v2, v2
	v_mul_lo_u32 v3, s26, v2
	v_mul_hi_u32 v3, v2, v3
	v_add_u32_e32 v2, v2, v3
	v_mul_hi_u32 v2, v6, v2
	v_mul_lo_u32 v3, v2, s24
	v_add_u32_e32 v8, 1, v2
	v_sub_u32_e32 v3, v6, v3
	v_subrev_u32_e32 v9, s24, v3
	v_cmp_le_u32_e32 vcc, s24, v3
	v_cndmask_b32_e32 v3, v3, v9, vcc
	v_cndmask_b32_e32 v2, v2, v8, vcc
	v_add_u32_e32 v8, 1, v2
	v_cmp_le_u32_e32 vcc, s24, v3
	v_cndmask_b32_e32 v63, v2, v8, vcc
.LBB0_6:                                ;   in Loop: Header=BB0_2 Depth=1
	s_or_b64 exec, exec, s[0:1]
	v_mul_lo_u32 v8, v64, s24
	v_mul_lo_u32 v9, v63, s25
	v_mad_u64_u32 v[2:3], s[0:1], v63, s24, 0
	s_load_dwordx2 s[0:1], s[6:7], 0x0
	s_load_dwordx2 s[24:25], s[2:3], 0x0
	v_add3_u32 v3, v3, v9, v8
	v_sub_co_u32_e32 v2, vcc, v6, v2
	v_subb_co_u32_e32 v3, vcc, v7, v3, vcc
	s_waitcnt lgkmcnt(0)
	v_mul_lo_u32 v6, s0, v3
	v_mul_lo_u32 v7, s1, v2
	v_mad_u64_u32 v[4:5], s[0:1], s0, v2, v[4:5]
	v_mul_lo_u32 v3, s24, v3
	v_mul_lo_u32 v8, s25, v2
	v_mad_u64_u32 v[60:61], s[0:1], s24, v2, v[60:61]
	s_add_u32 s22, s22, 1
	s_addc_u32 s23, s23, 0
	s_add_u32 s2, s2, 8
	v_add3_u32 v61, v8, v61, v3
	s_addc_u32 s3, s3, 0
	v_mov_b32_e32 v2, s14
	s_add_u32 s6, s6, 8
	v_mov_b32_e32 v3, s15
	s_addc_u32 s7, s7, 0
	v_cmp_ge_u64_e32 vcc, s[22:23], v[2:3]
	s_add_u32 s20, s20, 8
	v_add3_u32 v5, v7, v5, v6
	s_addc_u32 s21, s21, 0
	s_cbranch_vccnz .LBB0_9
; %bb.7:                                ;   in Loop: Header=BB0_2 Depth=1
	v_mov_b32_e32 v6, v63
	v_mov_b32_e32 v7, v64
	s_branch .LBB0_2
.LBB0_8:
	v_mov_b32_e32 v61, v5
	v_mov_b32_e32 v64, v7
	;; [unrolled: 1-line block ×4, first 2 shown]
.LBB0_9:
	s_load_dwordx2 s[0:1], s[4:5], 0x28
	s_lshl_b64 s[6:7], s[14:15], 3
	s_add_u32 s2, s18, s6
	s_addc_u32 s3, s19, s7
                                        ; implicit-def: $vgpr62
	s_waitcnt lgkmcnt(0)
	v_cmp_gt_u64_e32 vcc, s[0:1], v[63:64]
	v_cmp_le_u64_e64 s[0:1], s[0:1], v[63:64]
	s_and_saveexec_b64 s[4:5], s[0:1]
	s_xor_b64 s[0:1], exec, s[4:5]
; %bb.10:
	s_mov_b32 s4, 0x1f81f82
	v_mul_hi_u32 v1, v0, s4
                                        ; implicit-def: $vgpr4_vgpr5
	v_mul_u32_u24_e32 v1, 0x82, v1
	v_sub_u32_e32 v62, v0, v1
                                        ; implicit-def: $vgpr0
; %bb.11:
	s_or_saveexec_b64 s[4:5], s[0:1]
                                        ; implicit-def: $vgpr10_vgpr11
                                        ; implicit-def: $vgpr38_vgpr39
                                        ; implicit-def: $vgpr6_vgpr7
                                        ; implicit-def: $vgpr26_vgpr27
                                        ; implicit-def: $vgpr18_vgpr19
                                        ; implicit-def: $vgpr34_vgpr35
                                        ; implicit-def: $vgpr14_vgpr15
                                        ; implicit-def: $vgpr30_vgpr31
                                        ; implicit-def: $vgpr2_vgpr3
                                        ; implicit-def: $vgpr22_vgpr23
	s_xor_b64 exec, exec, s[4:5]
	s_cbranch_execz .LBB0_13
; %bb.12:
	s_add_u32 s0, s16, s6
	s_addc_u32 s1, s17, s7
	s_load_dwordx2 s[0:1], s[0:1], 0x0
	s_mov_b32 s6, 0x1f81f82
	v_mul_hi_u32 v3, v0, s6
	s_waitcnt lgkmcnt(0)
	v_mul_lo_u32 v6, s1, v63
	v_mul_lo_u32 v7, s0, v64
	v_mad_u64_u32 v[1:2], s[0:1], s0, v63, 0
	v_mul_u32_u24_e32 v3, 0x82, v3
	v_sub_u32_e32 v62, v0, v3
	v_add3_u32 v2, v2, v7, v6
	v_lshlrev_b64 v[0:1], 4, v[1:2]
	v_mov_b32_e32 v2, s9
	v_add_co_u32_e64 v3, s[0:1], s8, v0
	v_addc_co_u32_e64 v2, s[0:1], v2, v1, s[0:1]
	v_lshlrev_b64 v[0:1], 4, v[4:5]
	v_add_co_u32_e64 v0, s[0:1], v3, v0
	v_addc_co_u32_e64 v1, s[0:1], v2, v1, s[0:1]
	v_lshlrev_b32_e32 v2, 4, v62
	v_add_co_u32_e64 v4, s[0:1], v0, v2
	v_addc_co_u32_e64 v5, s[0:1], 0, v1, s[0:1]
	s_movk_i32 s0, 0x1000
	v_add_co_u32_e64 v40, s[0:1], s0, v4
	v_addc_co_u32_e64 v41, s[0:1], 0, v5, s[0:1]
	s_movk_i32 s0, 0x2000
	;; [unrolled: 3-line block ×4, first 2 shown]
	v_add_co_u32_e64 v46, s[0:1], s0, v4
	global_load_dwordx4 v[20:23], v[4:5], off
	global_load_dwordx4 v[0:3], v[4:5], off offset:2080
	v_addc_co_u32_e64 v47, s[0:1], 0, v5, s[0:1]
	global_load_dwordx4 v[28:31], v[40:41], off offset:64
	global_load_dwordx4 v[12:15], v[40:41], off offset:2144
	;; [unrolled: 1-line block ×8, first 2 shown]
.LBB0_13:
	s_or_b64 exec, exec, s[4:5]
	s_waitcnt vmcnt(3)
	v_add_f64 v[42:43], v[24:25], v[32:33]
	v_add_f64 v[40:41], v[28:29], v[20:21]
	s_waitcnt vmcnt(1)
	v_add_f64 v[44:45], v[30:31], -v[38:39]
	v_add_f64 v[48:49], v[28:29], -v[32:33]
	v_add_f64 v[50:51], v[36:37], v[28:29]
	v_add_f64 v[52:53], v[36:37], -v[24:25]
	s_mov_b32 s0, 0x134454ff
	s_mov_b32 s1, 0x3fee6f0e
	v_fma_f64 v[42:43], v[42:43], -0.5, v[20:21]
	s_mov_b32 s9, 0xbfee6f0e
	s_mov_b32 s8, s0
	v_add_f64 v[40:41], v[32:33], v[40:41]
	v_add_f64 v[46:47], v[34:35], -v[26:27]
	v_fma_f64 v[20:21], v[50:51], -0.5, v[20:21]
	v_add_f64 v[48:49], v[52:53], v[48:49]
	v_add_f64 v[52:53], v[30:31], v[22:23]
	v_fma_f64 v[54:55], v[44:45], s[0:1], v[42:43]
	v_fma_f64 v[42:43], v[44:45], s[8:9], v[42:43]
	s_load_dwordx2 s[4:5], s[2:3], 0x0
	s_mov_b32 s2, 0x4755a5e
	s_mov_b32 s3, 0x3fe2cf23
	;; [unrolled: 1-line block ×4, first 2 shown]
	v_add_f64 v[40:41], v[24:25], v[40:41]
	v_fma_f64 v[50:51], v[46:47], s[2:3], v[54:55]
	v_add_f64 v[54:55], v[26:27], v[34:35]
	v_fma_f64 v[56:57], v[46:47], s[8:9], v[20:21]
	v_add_f64 v[58:59], v[32:33], -v[28:29]
	v_add_f64 v[65:66], v[24:25], -v[36:37]
	v_fma_f64 v[42:43], v[46:47], s[14:15], v[42:43]
	v_fma_f64 v[20:21], v[46:47], s[0:1], v[20:21]
	v_add_f64 v[46:47], v[34:35], v[52:53]
	v_add_f64 v[40:41], v[36:37], v[40:41]
	v_fma_f64 v[52:53], v[54:55], -0.5, v[22:23]
	v_add_f64 v[28:29], v[28:29], -v[36:37]
	v_fma_f64 v[36:37], v[44:45], s[2:3], v[56:57]
	v_add_f64 v[54:55], v[65:66], v[58:59]
	s_mov_b32 s6, 0x372fe950
	v_fma_f64 v[20:21], v[44:45], s[14:15], v[20:21]
	v_add_f64 v[44:45], v[26:27], v[46:47]
	v_add_f64 v[46:47], v[38:39], v[30:31]
	s_mov_b32 s7, 0x3fd3c6ef
	v_fma_f64 v[50:51], v[48:49], s[6:7], v[50:51]
	v_fma_f64 v[42:43], v[48:49], s[6:7], v[42:43]
	;; [unrolled: 1-line block ×3, first 2 shown]
	v_add_f64 v[24:25], v[32:33], -v[24:25]
	v_fma_f64 v[32:33], v[54:55], s[6:7], v[36:37]
	v_add_f64 v[36:37], v[4:5], v[16:17]
	v_add_f64 v[56:57], v[30:31], -v[34:35]
	v_add_f64 v[58:59], v[38:39], -v[26:27]
	v_fma_f64 v[54:55], v[54:55], s[6:7], v[20:21]
	v_fma_f64 v[20:21], v[46:47], -0.5, v[22:23]
	v_add_f64 v[22:23], v[38:39], v[44:45]
	v_fma_f64 v[44:45], v[24:25], s[14:15], v[48:49]
	v_add_f64 v[46:47], v[12:13], v[0:1]
	v_fma_f64 v[36:37], v[36:37], -0.5, v[0:1]
	s_waitcnt vmcnt(0)
	v_add_f64 v[48:49], v[14:15], -v[10:11]
	v_add_f64 v[56:57], v[58:59], v[56:57]
	v_fma_f64 v[52:53], v[28:29], s[0:1], v[52:53]
	v_fma_f64 v[58:59], v[24:25], s[0:1], v[20:21]
	v_add_f64 v[30:31], v[34:35], -v[30:31]
	v_add_f64 v[26:27], v[26:27], -v[38:39]
	v_fma_f64 v[20:21], v[24:25], s[8:9], v[20:21]
	v_add_f64 v[34:35], v[16:17], v[46:47]
	v_fma_f64 v[38:39], v[48:49], s[0:1], v[36:37]
	v_add_f64 v[46:47], v[18:19], -v[6:7]
	v_add_f64 v[65:66], v[12:13], -v[16:17]
	;; [unrolled: 1-line block ×3, first 2 shown]
	v_fma_f64 v[24:25], v[24:25], s[2:3], v[52:53]
	v_fma_f64 v[52:53], v[28:29], s[14:15], v[58:59]
	v_add_f64 v[58:59], v[8:9], v[12:13]
	v_add_f64 v[26:27], v[26:27], v[30:31]
	v_fma_f64 v[20:21], v[28:29], s[2:3], v[20:21]
	v_add_f64 v[28:29], v[4:5], v[34:35]
	v_fma_f64 v[30:31], v[46:47], s[2:3], v[38:39]
	;; [unrolled: 2-line block ×3, first 2 shown]
	v_fma_f64 v[38:39], v[56:57], s[6:7], v[44:45]
	v_fma_f64 v[0:1], v[58:59], -0.5, v[0:1]
	v_fma_f64 v[44:45], v[56:57], s[6:7], v[24:25]
	v_fma_f64 v[52:53], v[26:27], s[6:7], v[52:53]
	;; [unrolled: 1-line block ×3, first 2 shown]
	v_add_f64 v[26:27], v[6:7], v[18:19]
	v_add_f64 v[20:21], v[8:9], v[28:29]
	v_fma_f64 v[24:25], v[34:35], s[6:7], v[30:31]
	v_fma_f64 v[28:29], v[46:47], s[14:15], v[36:37]
	;; [unrolled: 1-line block ×3, first 2 shown]
	v_add_f64 v[58:59], v[14:15], v[2:3]
	v_add_f64 v[67:68], v[10:11], v[14:15]
	v_add_f64 v[36:37], v[16:17], -v[12:13]
	v_add_f64 v[65:66], v[4:5], -v[8:9]
	v_fma_f64 v[26:27], v[26:27], -0.5, v[2:3]
	v_add_f64 v[8:9], v[12:13], -v[8:9]
	v_fma_f64 v[0:1], v[46:47], s[0:1], v[0:1]
	v_fma_f64 v[12:13], v[34:35], s[6:7], v[28:29]
	;; [unrolled: 1-line block ×3, first 2 shown]
	v_add_f64 v[30:31], v[18:19], v[58:59]
	v_add_f64 v[4:5], v[16:17], -v[4:5]
	v_fma_f64 v[2:3], v[67:68], -0.5, v[2:3]
	v_add_f64 v[16:17], v[65:66], v[36:37]
	v_fma_f64 v[34:35], v[8:9], s[8:9], v[26:27]
	v_add_f64 v[36:37], v[14:15], -v[18:19]
	v_add_f64 v[46:47], v[10:11], -v[6:7]
	v_fma_f64 v[0:1], v[48:49], s[14:15], v[0:1]
	v_add_f64 v[30:31], v[6:7], v[30:31]
	v_add_f64 v[14:15], v[18:19], -v[14:15]
	v_fma_f64 v[48:49], v[4:5], s[0:1], v[2:3]
	v_add_f64 v[6:7], v[6:7], -v[10:11]
	v_fma_f64 v[2:3], v[4:5], s[8:9], v[2:3]
	v_fma_f64 v[26:27], v[8:9], s[0:1], v[26:27]
	;; [unrolled: 1-line block ×3, first 2 shown]
	v_add_f64 v[34:35], v[46:47], v[36:37]
	v_fma_f64 v[28:29], v[16:17], s[6:7], v[28:29]
	v_fma_f64 v[16:17], v[16:17], s[6:7], v[0:1]
	s_mov_b32 s16, 0x9b97f4a8
	v_add_f64 v[6:7], v[6:7], v[14:15]
	v_fma_f64 v[2:3], v[8:9], s[2:3], v[2:3]
	v_fma_f64 v[0:1], v[4:5], s[2:3], v[26:27]
	s_mov_b32 s17, 0x3fe9e377
	v_fma_f64 v[4:5], v[8:9], s[14:15], v[48:49]
	v_add_f64 v[26:27], v[10:11], v[30:31]
	v_fma_f64 v[8:9], v[34:35], s[6:7], v[18:19]
	v_mul_f64 v[10:11], v[24:25], s[16:17]
	v_mul_f64 v[30:31], v[12:13], s[16:17]
	v_fma_f64 v[2:3], v[6:7], s[6:7], v[2:3]
	v_fma_f64 v[14:15], v[34:35], s[6:7], v[0:1]
	v_add_f64 v[0:1], v[20:21], v[40:41]
	v_fma_f64 v[18:19], v[6:7], s[6:7], v[4:5]
	v_mul_f64 v[4:5], v[28:29], s[6:7]
	v_mul_f64 v[6:7], v[16:17], s[6:7]
	v_fma_f64 v[34:35], v[8:9], s[2:3], v[10:11]
	v_mul_f64 v[10:11], v[24:25], s[14:15]
	v_mul_f64 v[24:25], v[28:29], s[8:9]
	;; [unrolled: 1-line block ×4, first 2 shown]
	v_fma_f64 v[30:31], v[14:15], s[2:3], -v[30:31]
	v_fma_f64 v[46:47], v[18:19], s[0:1], v[4:5]
	v_fma_f64 v[48:49], v[2:3], s[0:1], -v[6:7]
	v_add_f64 v[2:3], v[26:27], v[22:23]
	v_fma_f64 v[58:59], v[8:9], s[16:17], v[10:11]
	v_fma_f64 v[65:66], v[18:19], s[6:7], v[24:25]
	v_fma_f64 v[67:68], v[16:17], s[8:9], -v[28:29]
	v_fma_f64 v[69:70], v[12:13], s[14:15], -v[36:37]
	v_add_f64 v[4:5], v[50:51], v[34:35]
	v_add_f64 v[8:9], v[32:33], v[46:47]
	;; [unrolled: 1-line block ×8, first 2 shown]
	v_add_f64 v[20:21], v[40:41], -v[20:21]
	v_add_f64 v[22:23], v[22:23], -v[26:27]
	;; [unrolled: 1-line block ×4, first 2 shown]
	v_mul_u32_u24_e32 v40, 10, v62
	v_add_f64 v[28:29], v[32:33], -v[46:47]
	v_add_f64 v[36:37], v[42:43], -v[30:31]
	;; [unrolled: 1-line block ×3, first 2 shown]
	v_lshl_add_u32 v40, v40, 4, 0
	s_movk_i32 s18, 0xcd
	v_add_f64 v[32:33], v[54:55], -v[48:49]
	v_add_f64 v[34:35], v[56:57], -v[67:68]
	;; [unrolled: 1-line block ×3, first 2 shown]
	ds_write_b128 v40, v[0:3]
	ds_write_b128 v40, v[4:7] offset:16
	ds_write_b128 v40, v[8:11] offset:32
	ds_write_b128 v40, v[12:15] offset:48
	ds_write_b128 v40, v[16:19] offset:64
	ds_write_b128 v40, v[20:23] offset:80
	ds_write_b128 v40, v[24:27] offset:96
	ds_write_b128 v40, v[28:31] offset:112
	ds_write_b128 v40, v[32:35] offset:128
	ds_write_b128 v40, v[36:39] offset:144
	v_mul_lo_u16_sdwa v0, v62, s18 dst_sel:DWORD dst_unused:UNUSED_PAD src0_sel:BYTE_0 src1_sel:DWORD
	v_lshrrev_b16_e32 v42, 11, v0
	v_mul_lo_u16_e32 v0, 10, v42
	v_sub_u16_e32 v41, v62, v0
	v_mov_b32_e32 v0, 9
	v_mul_u32_u24_sdwa v0, v41, v0 dst_sel:DWORD dst_unused:UNUSED_PAD src0_sel:BYTE_0 src1_sel:DWORD
	v_lshlrev_b32_e32 v36, 4, v0
	s_waitcnt lgkmcnt(0)
	s_barrier
	global_load_dwordx4 v[0:3], v36, s[12:13]
	global_load_dwordx4 v[4:7], v36, s[12:13] offset:16
	global_load_dwordx4 v[8:11], v36, s[12:13] offset:32
	;; [unrolled: 1-line block ×8, first 2 shown]
	s_movk_i32 s18, 0xff70
	v_mad_i32_i24 v59, v62, s18, v40
	ds_read_b128 v[36:39], v59 offset:2080
	ds_read_b128 v[43:46], v59
	ds_read_b128 v[47:50], v59 offset:4160
	ds_read_b128 v[51:54], v59 offset:6240
	ds_read_b128 v[55:58], v59 offset:8320
	ds_read_b128 v[65:68], v59 offset:10400
	ds_read_b128 v[69:72], v59 offset:12480
	ds_read_b128 v[73:76], v59 offset:14560
	ds_read_b128 v[77:80], v59 offset:16640
	ds_read_b128 v[81:84], v59 offset:18720
	v_mul_u32_u24_e32 v42, 0x640, v42
	s_waitcnt vmcnt(0) lgkmcnt(0)
	s_barrier
	v_mul_f64 v[85:86], v[38:39], v[2:3]
	v_mul_f64 v[2:3], v[36:37], v[2:3]
	;; [unrolled: 1-line block ×6, first 2 shown]
	v_fma_f64 v[36:37], v[36:37], v[0:1], -v[85:86]
	v_mul_f64 v[85:86], v[49:50], v[6:7]
	v_mul_f64 v[6:7], v[47:48], v[6:7]
	v_fma_f64 v[0:1], v[38:39], v[0:1], v[2:3]
	v_mul_f64 v[2:3], v[51:52], v[10:11]
	v_mul_f64 v[10:11], v[55:56], v[14:15]
	v_fma_f64 v[38:39], v[55:56], v[12:13], -v[89:90]
	v_fma_f64 v[14:15], v[47:48], v[4:5], -v[85:86]
	v_fma_f64 v[4:5], v[49:50], v[4:5], v[6:7]
	v_fma_f64 v[47:48], v[69:70], v[16:17], -v[91:92]
	v_mul_f64 v[49:50], v[77:78], v[22:23]
	v_mul_f64 v[22:23], v[79:80], v[22:23]
	v_fma_f64 v[6:7], v[51:52], v[8:9], -v[87:88]
	v_fma_f64 v[2:3], v[53:54], v[8:9], v[2:3]
	v_fma_f64 v[8:9], v[57:58], v[12:13], v[10:11]
	v_mul_f64 v[10:11], v[67:68], v[26:27]
	v_mul_f64 v[12:13], v[65:66], v[26:27]
	v_add_f64 v[26:27], v[43:44], v[14:15]
	v_add_f64 v[51:52], v[38:39], v[47:48]
	v_fma_f64 v[49:50], v[79:80], v[20:21], v[49:50]
	v_mul_f64 v[53:54], v[75:76], v[30:31]
	v_fma_f64 v[20:21], v[77:78], v[20:21], -v[22:23]
	v_fma_f64 v[16:17], v[71:72], v[16:17], v[18:19]
	v_fma_f64 v[10:11], v[65:66], v[24:25], -v[10:11]
	v_fma_f64 v[12:13], v[67:68], v[24:25], v[12:13]
	v_add_f64 v[22:23], v[26:27], v[38:39]
	v_fma_f64 v[24:25], v[51:52], -0.5, v[43:44]
	v_add_f64 v[26:27], v[4:5], -v[49:50]
	v_fma_f64 v[18:19], v[73:74], v[28:29], -v[53:54]
	v_mul_f64 v[30:31], v[73:74], v[30:31]
	v_add_f64 v[53:54], v[14:15], v[20:21]
	v_mul_f64 v[51:52], v[83:84], v[34:35]
	v_mul_f64 v[34:35], v[81:82], v[34:35]
	v_add_f64 v[22:23], v[22:23], v[47:48]
	v_add_f64 v[57:58], v[8:9], -v[16:17]
	v_fma_f64 v[55:56], v[26:27], s[0:1], v[24:25]
	v_add_f64 v[65:66], v[14:15], -v[38:39]
	v_add_f64 v[67:68], v[20:21], -v[47:48]
	v_fma_f64 v[28:29], v[75:76], v[28:29], v[30:31]
	v_fma_f64 v[30:31], v[53:54], -0.5, v[43:44]
	v_fma_f64 v[43:44], v[81:82], v[32:33], -v[51:52]
	v_fma_f64 v[32:33], v[83:84], v[32:33], v[34:35]
	v_add_f64 v[34:35], v[22:23], v[20:21]
	v_fma_f64 v[22:23], v[57:58], s[2:3], v[55:56]
	v_add_f64 v[51:52], v[8:9], v[16:17]
	v_add_f64 v[53:54], v[65:66], v[67:68]
	v_fma_f64 v[24:25], v[26:27], s[8:9], v[24:25]
	v_fma_f64 v[55:56], v[57:58], s[8:9], v[30:31]
	v_add_f64 v[65:66], v[38:39], -v[14:15]
	v_add_f64 v[67:68], v[47:48], -v[20:21]
	v_fma_f64 v[30:31], v[57:58], s[0:1], v[30:31]
	v_add_f64 v[69:70], v[45:46], v[4:5]
	v_fma_f64 v[51:52], v[51:52], -0.5, v[45:46]
	v_add_f64 v[14:15], v[14:15], -v[20:21]
	v_fma_f64 v[71:72], v[53:54], s[6:7], v[22:23]
	v_fma_f64 v[20:21], v[57:58], s[14:15], v[24:25]
	;; [unrolled: 1-line block ×3, first 2 shown]
	v_add_f64 v[24:25], v[65:66], v[67:68]
	v_add_f64 v[55:56], v[4:5], v[49:50]
	v_fma_f64 v[26:27], v[26:27], s[14:15], v[30:31]
	v_add_f64 v[30:31], v[69:70], v[8:9]
	v_fma_f64 v[57:58], v[14:15], s[8:9], v[51:52]
	v_add_f64 v[38:39], v[38:39], -v[47:48]
	v_add_f64 v[47:48], v[4:5], -v[8:9]
	;; [unrolled: 1-line block ×3, first 2 shown]
	v_fma_f64 v[53:54], v[53:54], s[6:7], v[20:21]
	v_fma_f64 v[20:21], v[55:56], -0.5, v[45:46]
	v_fma_f64 v[45:46], v[24:25], s[6:7], v[22:23]
	v_add_f64 v[22:23], v[30:31], v[16:17]
	v_fma_f64 v[51:52], v[14:15], s[0:1], v[51:52]
	v_add_f64 v[4:5], v[8:9], -v[4:5]
	v_add_f64 v[8:9], v[36:37], v[6:7]
	v_fma_f64 v[30:31], v[38:39], s[14:15], v[57:58]
	v_add_f64 v[47:48], v[47:48], v[65:66]
	v_fma_f64 v[55:56], v[38:39], s[0:1], v[20:21]
	v_add_f64 v[16:17], v[16:17], -v[49:50]
	v_add_f64 v[49:50], v[22:23], v[49:50]
	v_fma_f64 v[22:23], v[38:39], s[2:3], v[51:52]
	v_fma_f64 v[20:21], v[38:39], s[8:9], v[20:21]
	v_add_f64 v[8:9], v[8:9], v[10:11]
	v_fma_f64 v[26:27], v[24:25], s[6:7], v[26:27]
	v_add_f64 v[24:25], v[10:11], v[18:19]
	v_fma_f64 v[65:66], v[47:48], s[6:7], v[30:31]
	v_fma_f64 v[30:31], v[14:15], s[14:15], v[55:56]
	v_add_f64 v[4:5], v[4:5], v[16:17]
	v_add_f64 v[51:52], v[6:7], -v[10:11]
	v_add_f64 v[55:56], v[43:44], -v[18:19]
	v_fma_f64 v[14:15], v[14:15], s[2:3], v[20:21]
	v_add_f64 v[8:9], v[8:9], v[18:19]
	v_fma_f64 v[47:48], v[47:48], s[6:7], v[22:23]
	v_add_f64 v[20:21], v[6:7], v[43:44]
	v_add_f64 v[22:23], v[12:13], v[28:29]
	v_fma_f64 v[24:25], v[24:25], -0.5, v[36:37]
	v_add_f64 v[57:58], v[2:3], -v[32:33]
	v_fma_f64 v[67:68], v[4:5], s[6:7], v[30:31]
	v_add_f64 v[30:31], v[51:52], v[55:56]
	v_fma_f64 v[51:52], v[4:5], s[6:7], v[14:15]
	v_add_f64 v[55:56], v[8:9], v[43:44]
	v_add_f64 v[8:9], v[2:3], v[32:33]
	v_fma_f64 v[14:15], v[20:21], -0.5, v[36:37]
	v_fma_f64 v[20:21], v[22:23], -0.5, v[0:1]
	v_add_f64 v[22:23], v[6:7], -v[43:44]
	v_fma_f64 v[16:17], v[57:58], s[0:1], v[24:25]
	v_add_f64 v[38:39], v[12:13], -v[28:29]
	v_fma_f64 v[4:5], v[57:58], s[8:9], v[24:25]
	v_add_f64 v[6:7], v[10:11], -v[6:7]
	v_add_f64 v[24:25], v[18:19], -v[43:44]
	;; [unrolled: 1-line block ×3, first 2 shown]
	v_fma_f64 v[8:9], v[8:9], -0.5, v[0:1]
	v_fma_f64 v[36:37], v[22:23], s[8:9], v[20:21]
	v_add_f64 v[43:44], v[2:3], -v[12:13]
	v_add_f64 v[69:70], v[32:33], -v[28:29]
	v_add_f64 v[0:1], v[0:1], v[2:3]
	v_fma_f64 v[16:17], v[38:39], s[2:3], v[16:17]
	v_fma_f64 v[4:5], v[38:39], s[14:15], v[4:5]
	;; [unrolled: 1-line block ×3, first 2 shown]
	v_add_f64 v[6:7], v[6:7], v[24:25]
	v_fma_f64 v[24:25], v[10:11], s[0:1], v[8:9]
	v_add_f64 v[2:3], v[12:13], -v[2:3]
	v_add_f64 v[73:74], v[28:29], -v[32:33]
	v_fma_f64 v[14:15], v[38:39], s[0:1], v[14:15]
	v_fma_f64 v[36:37], v[10:11], s[14:15], v[36:37]
	v_add_f64 v[38:39], v[43:44], v[69:70]
	v_add_f64 v[0:1], v[0:1], v[12:13]
	v_fma_f64 v[12:13], v[22:23], s[0:1], v[20:21]
	v_fma_f64 v[8:9], v[10:11], s[8:9], v[8:9]
	;; [unrolled: 1-line block ×3, first 2 shown]
	v_add_f64 v[2:3], v[2:3], v[73:74]
	v_fma_f64 v[14:15], v[57:58], s[14:15], v[14:15]
	v_fma_f64 v[18:19], v[57:58], s[2:3], v[18:19]
	;; [unrolled: 1-line block ×6, first 2 shown]
	v_add_f64 v[0:1], v[0:1], v[28:29]
	v_fma_f64 v[12:13], v[30:31], s[6:7], v[4:5]
	v_fma_f64 v[20:21], v[2:3], s[6:7], v[20:21]
	;; [unrolled: 1-line block ×4, first 2 shown]
	v_mul_f64 v[6:7], v[24:25], s[2:3]
	v_fma_f64 v[10:11], v[38:39], s[6:7], v[10:11]
	v_fma_f64 v[2:3], v[2:3], s[6:7], v[8:9]
	v_add_f64 v[18:19], v[0:1], v[32:33]
	v_mul_f64 v[28:29], v[12:13], s[16:17]
	v_mul_f64 v[8:9], v[20:21], s[0:1]
	;; [unrolled: 1-line block ×3, first 2 shown]
	v_add_f64 v[0:1], v[34:35], v[55:56]
	v_fma_f64 v[30:31], v[16:17], s[16:17], v[6:7]
	v_mul_f64 v[6:7], v[16:17], s[14:15]
	v_mul_f64 v[16:17], v[4:5], s[8:9]
	;; [unrolled: 1-line block ×4, first 2 shown]
	v_fma_f64 v[38:39], v[4:5], s[6:7], v[8:9]
	v_fma_f64 v[43:44], v[2:3], s[0:1], -v[22:23]
	v_fma_f64 v[57:58], v[10:11], s[2:3], -v[28:29]
	v_add_f64 v[4:5], v[71:72], v[30:31]
	v_fma_f64 v[69:70], v[24:25], s[16:17], v[6:7]
	v_fma_f64 v[73:74], v[20:21], s[6:7], v[16:17]
	v_fma_f64 v[75:76], v[14:15], s[8:9], -v[32:33]
	v_fma_f64 v[77:78], v[12:13], s[14:15], -v[36:37]
	v_add_f64 v[8:9], v[45:46], v[38:39]
	v_add_f64 v[12:13], v[26:27], v[43:44]
	;; [unrolled: 1-line block ×8, first 2 shown]
	v_add_f64 v[28:29], v[34:35], -v[55:56]
	v_add_f64 v[16:17], v[71:72], -v[30:31]
	;; [unrolled: 1-line block ×10, first 2 shown]
	v_mov_b32_e32 v43, 4
	v_lshlrev_b32_sdwa v41, v43, v41 dst_sel:DWORD dst_unused:UNUSED_PAD src0_sel:DWORD src1_sel:BYTE_0
	s_movk_i32 s6, 0x64
	v_add3_u32 v41, 0, v42, v41
	v_cmp_gt_u32_e64 s[0:1], s6, v62
	ds_write_b128 v41, v[0:3]
	ds_write_b128 v41, v[4:7] offset:160
	ds_write_b128 v41, v[8:11] offset:320
	;; [unrolled: 1-line block ×9, first 2 shown]
	s_waitcnt lgkmcnt(0)
	s_barrier
	s_waitcnt lgkmcnt(0)
                                        ; implicit-def: $vgpr50_vgpr51
                                        ; implicit-def: $vgpr46_vgpr47
                                        ; implicit-def: $vgpr42_vgpr43
	s_and_saveexec_b64 s[2:3], s[0:1]
	s_cbranch_execz .LBB0_15
; %bb.14:
	v_mul_i32_i24_e32 v0, 0xffffff70, v62
	v_add_u32_e32 v48, v40, v0
	ds_read_b128 v[0:3], v48
	ds_read_b128 v[4:7], v48 offset:1600
	ds_read_b128 v[8:11], v48 offset:3200
	;; [unrolled: 1-line block ×12, first 2 shown]
.LBB0_15:
	s_or_b64 exec, exec, s[2:3]
	v_cmp_gt_u32_e64 s[2:3], s6, v62
	s_and_b64 s[2:3], vcc, s[2:3]
	s_and_saveexec_b64 s[6:7], s[2:3]
	s_cbranch_execz .LBB0_17
; %bb.16:
	v_add_u32_e32 v52, 0xffffff9c, v62
	v_cndmask_b32_e64 v52, v52, v62, s[0:1]
	v_mul_i32_i24_e32 v65, 12, v52
	v_mov_b32_e32 v66, 0
	v_lshlrev_b64 v[52:53], 4, v[65:66]
	v_mov_b32_e32 v54, s13
	v_add_co_u32_e32 v71, vcc, s12, v52
	v_addc_co_u32_e32 v72, vcc, v54, v53, vcc
	global_load_dwordx4 v[56:59], v[71:72], off offset:1520
	global_load_dwordx4 v[52:55], v[71:72], off offset:1536
	;; [unrolled: 1-line block ×12, first 2 shown]
	s_mov_b32 s0, 0x93053d00
	s_mov_b32 s6, 0x4bc48dbf
	;; [unrolled: 1-line block ×36, first 2 shown]
	s_waitcnt vmcnt(11) lgkmcnt(6)
	v_mul_f64 v[71:72], v[18:19], v[56:57]
	s_waitcnt vmcnt(10) lgkmcnt(5)
	v_mul_f64 v[127:128], v[26:27], v[52:53]
	v_mul_f64 v[129:130], v[26:27], v[54:55]
	s_waitcnt vmcnt(9)
	v_mul_f64 v[26:27], v[30:31], v[67:68]
	v_mul_f64 v[18:19], v[18:19], v[58:59]
	;; [unrolled: 1-line block ×3, first 2 shown]
	s_waitcnt vmcnt(7)
	v_mul_f64 v[93:94], v[22:23], v[79:80]
	s_waitcnt vmcnt(6) lgkmcnt(3)
	v_mul_f64 v[107:108], v[38:39], v[85:86]
	s_waitcnt vmcnt(3)
	v_mul_f64 v[115:116], v[6:7], v[99:100]
	s_waitcnt vmcnt(2) lgkmcnt(0)
	v_mul_f64 v[125:126], v[50:51], v[103:104]
	v_mul_f64 v[117:118], v[14:15], v[89:90]
	;; [unrolled: 1-line block ×4, first 2 shown]
	s_waitcnt vmcnt(1)
	v_mul_f64 v[131:132], v[46:47], v[111:112]
	v_mul_f64 v[133:134], v[50:51], v[105:106]
	v_fma_f64 v[58:59], v[16:17], v[58:59], v[71:72]
	v_fma_f64 v[71:72], v[28:29], v[69:70], v[26:27]
	;; [unrolled: 1-line block ×4, first 2 shown]
	v_mul_f64 v[83:84], v[34:35], v[75:76]
	v_mul_f64 v[34:35], v[34:35], v[77:78]
	;; [unrolled: 1-line block ×6, first 2 shown]
	s_waitcnt vmcnt(0)
	v_mul_f64 v[137:138], v[42:43], v[119:120]
	v_mul_f64 v[139:140], v[42:43], v[121:122]
	v_fma_f64 v[73:74], v[28:29], v[67:68], -v[30:31]
	v_fma_f64 v[81:82], v[20:21], v[81:82], v[93:94]
	v_fma_f64 v[38:39], v[36:37], v[87:88], v[107:108]
	;; [unrolled: 1-line block ×5, first 2 shown]
	v_fma_f64 v[117:118], v[4:5], v[99:100], -v[6:7]
	v_fma_f64 v[28:29], v[48:49], v[103:104], -v[133:134]
	v_add_f64 v[125:126], v[115:116], v[26:27]
	v_add_f64 v[123:124], v[115:116], -v[26:27]
	v_mul_f64 v[14:15], v[14:15], v[91:92]
	v_fma_f64 v[46:47], v[32:33], v[77:78], v[83:84]
	v_fma_f64 v[50:51], v[32:33], v[75:76], -v[34:35]
	v_fma_f64 v[42:43], v[36:37], v[85:86], -v[109:110]
	v_fma_f64 v[109:110], v[8:9], v[95:96], -v[10:11]
	v_fma_f64 v[32:33], v[44:45], v[111:112], -v[135:136]
	v_fma_f64 v[34:35], v[40:41], v[121:122], v[137:138]
	v_fma_f64 v[36:37], v[40:41], v[119:120], -v[139:140]
	v_add_f64 v[113:114], v[107:108], v[30:31]
	v_add_f64 v[119:120], v[117:118], -v[28:29]
	v_add_f64 v[121:122], v[117:118], v[28:29]
	v_add_f64 v[99:100], v[107:108], -v[30:31]
	v_mul_f64 v[4:5], v[125:126], s[0:1]
	v_mul_f64 v[6:7], v[123:124], s[8:9]
	v_fma_f64 v[83:84], v[20:21], v[79:80], -v[22:23]
	v_fma_f64 v[101:102], v[12:13], v[89:90], -v[14:15]
	v_add_f64 v[79:80], v[109:110], -v[32:33]
	v_add_f64 v[67:68], v[109:110], v[32:33]
	v_add_f64 v[111:112], v[93:94], v[34:35]
	v_add_f64 v[91:92], v[93:94], -v[34:35]
	v_mul_f64 v[8:9], v[113:114], s[2:3]
	v_mul_f64 v[10:11], v[99:100], s[14:15]
	v_fma_f64 v[12:13], v[119:120], s[6:7], v[4:5]
	v_fma_f64 v[14:15], v[121:122], s[0:1], v[6:7]
	v_add_f64 v[75:76], v[101:102], -v[36:37]
	v_add_f64 v[48:49], v[101:102], v[36:37]
	v_add_f64 v[103:104], v[81:82], v[38:39]
	v_add_f64 v[87:88], v[81:82], -v[38:39]
	v_mul_f64 v[20:21], v[111:112], s[12:13]
	v_mul_f64 v[22:23], v[91:92], s[16:17]
	v_fma_f64 v[44:45], v[79:80], s[24:25], v[8:9]
	v_fma_f64 v[77:78], v[67:68], s[2:3], v[10:11]
	v_add_f64 v[12:13], v[2:3], v[12:13]
	v_add_f64 v[14:15], v[0:1], v[14:15]
	v_add_f64 v[69:70], v[83:84], -v[42:43]
	v_add_f64 v[40:41], v[83:84], v[42:43]
	v_add_f64 v[89:90], v[71:72], v[46:47]
	v_add_f64 v[85:86], v[71:72], -v[46:47]
	v_mul_f64 v[131:132], v[103:104], s[20:21]
	v_mul_f64 v[133:134], v[87:88], s[36:37]
	v_fma_f64 v[95:96], v[75:76], s[18:19], v[20:21]
	v_fma_f64 v[97:98], v[48:49], s[12:13], v[22:23]
	v_add_f64 v[12:13], v[44:45], v[12:13]
	v_add_f64 v[14:15], v[77:78], v[14:15]
	v_fma_f64 v[54:55], v[24:25], v[54:55], v[127:128]
	v_add_f64 v[77:78], v[73:74], -v[50:51]
	v_add_f64 v[44:45], v[73:74], v[50:51]
	v_mul_f64 v[135:136], v[89:90], s[26:27]
	v_mul_f64 v[137:138], v[85:86], s[28:29]
	v_fma_f64 v[139:140], v[69:70], s[22:23], v[131:132]
	v_fma_f64 v[141:142], v[40:41], s[20:21], v[133:134]
	v_add_f64 v[12:13], v[95:96], v[12:13]
	v_add_f64 v[14:15], v[97:98], v[14:15]
	v_fma_f64 v[105:106], v[16:17], v[56:57], -v[18:19]
	v_fma_f64 v[56:57], v[24:25], v[52:53], -v[129:130]
	v_fma_f64 v[4:5], v[119:120], s[8:9], v[4:5]
	v_add_f64 v[95:96], v[58:59], v[54:55]
	v_add_f64 v[52:53], v[58:59], -v[54:55]
	v_fma_f64 v[16:17], v[77:78], s[34:35], v[135:136]
	v_fma_f64 v[18:19], v[44:45], s[26:27], v[137:138]
	v_add_f64 v[12:13], v[139:140], v[12:13]
	v_add_f64 v[14:15], v[141:142], v[14:15]
	v_fma_f64 v[8:9], v[79:80], s[14:15], v[8:9]
	v_add_f64 v[4:5], v[2:3], v[4:5]
	v_add_f64 v[24:25], v[105:106], -v[56:57]
	v_fma_f64 v[6:7], v[121:122], s[0:1], -v[6:7]
	v_mul_f64 v[127:128], v[95:96], s[30:31]
	v_add_f64 v[97:98], v[105:106], v[56:57]
	v_mul_f64 v[129:130], v[52:53], s[40:41]
	v_add_f64 v[12:13], v[16:17], v[12:13]
	v_fma_f64 v[10:11], v[67:68], s[2:3], -v[10:11]
	v_add_f64 v[4:5], v[8:9], v[4:5]
	v_fma_f64 v[8:9], v[75:76], s[16:17], v[20:21]
	v_add_f64 v[6:7], v[0:1], v[6:7]
	v_add_f64 v[14:15], v[18:19], v[14:15]
	v_fma_f64 v[16:17], v[24:25], s[38:39], v[127:128]
	v_mul_f64 v[18:19], v[125:126], s[12:13]
	v_fma_f64 v[20:21], v[97:98], s[30:31], v[129:130]
	v_mul_f64 v[139:140], v[123:124], s[16:17]
	v_fma_f64 v[131:132], v[69:70], s[36:37], v[131:132]
	v_add_f64 v[8:9], v[8:9], v[4:5]
	v_add_f64 v[10:11], v[10:11], v[6:7]
	v_fma_f64 v[22:23], v[48:49], s[12:13], -v[22:23]
	v_add_f64 v[6:7], v[16:17], v[12:13]
	v_fma_f64 v[12:13], v[119:120], s[18:19], v[18:19]
	v_mul_f64 v[16:17], v[113:114], s[30:31]
	v_add_f64 v[4:5], v[20:21], v[14:15]
	v_fma_f64 v[14:15], v[121:122], s[12:13], v[139:140]
	v_mul_f64 v[20:21], v[99:100], s[40:41]
	v_add_f64 v[8:9], v[131:132], v[8:9]
	v_add_f64 v[10:11], v[22:23], v[10:11]
	v_fma_f64 v[22:23], v[40:41], s[20:21], -v[133:134]
	v_add_f64 v[12:13], v[2:3], v[12:13]
	v_fma_f64 v[131:132], v[79:80], s[38:39], v[16:17]
	v_mul_f64 v[133:134], v[111:112], s[20:21]
	v_fma_f64 v[135:136], v[77:78], s[28:29], v[135:136]
	v_add_f64 v[14:15], v[0:1], v[14:15]
	v_fma_f64 v[141:142], v[67:68], s[30:31], v[20:21]
	v_mul_f64 v[143:144], v[91:92], s[22:23]
	v_add_f64 v[10:11], v[22:23], v[10:11]
	v_fma_f64 v[22:23], v[44:45], s[26:27], -v[137:138]
	v_add_f64 v[12:13], v[131:132], v[12:13]
	v_fma_f64 v[131:132], v[75:76], s[36:37], v[133:134]
	v_mul_f64 v[137:138], v[103:104], s[0:1]
	v_add_f64 v[8:9], v[135:136], v[8:9]
	v_add_f64 v[14:15], v[141:142], v[14:15]
	v_fma_f64 v[135:136], v[48:49], s[20:21], v[143:144]
	v_mul_f64 v[141:142], v[87:88], s[6:7]
	v_fma_f64 v[127:128], v[24:25], s[40:41], v[127:128]
	v_add_f64 v[22:23], v[22:23], v[10:11]
	v_add_f64 v[12:13], v[131:132], v[12:13]
	v_fma_f64 v[131:132], v[69:70], s[8:9], v[137:138]
	v_mul_f64 v[145:146], v[89:90], s[2:3]
	v_fma_f64 v[129:130], v[97:98], s[30:31], -v[129:130]
	v_add_f64 v[14:15], v[135:136], v[14:15]
	v_fma_f64 v[135:136], v[40:41], s[0:1], v[141:142]
	v_add_f64 v[10:11], v[127:128], v[8:9]
	v_fma_f64 v[8:9], v[119:120], s[16:17], v[18:19]
	v_mul_f64 v[18:19], v[85:86], s[14:15]
	v_add_f64 v[12:13], v[131:132], v[12:13]
	v_fma_f64 v[127:128], v[121:122], s[12:13], -v[139:140]
	v_fma_f64 v[131:132], v[77:78], s[24:25], v[145:146]
	v_mul_f64 v[139:140], v[95:96], s[26:27]
	v_add_f64 v[14:15], v[135:136], v[14:15]
	v_fma_f64 v[16:17], v[79:80], s[40:41], v[16:17]
	v_add_f64 v[135:136], v[2:3], v[8:9]
	v_fma_f64 v[147:148], v[44:45], s[2:3], v[18:19]
	v_fma_f64 v[20:21], v[67:68], s[30:31], -v[20:21]
	v_add_f64 v[127:128], v[0:1], v[127:128]
	v_add_f64 v[12:13], v[131:132], v[12:13]
	v_fma_f64 v[131:132], v[24:25], s[34:35], v[139:140]
	v_mul_f64 v[149:150], v[125:126], s[26:27]
	v_add_f64 v[8:9], v[129:130], v[22:23]
	v_add_f64 v[16:17], v[16:17], v[135:136]
	v_fma_f64 v[22:23], v[75:76], s[22:23], v[133:134]
	v_add_f64 v[129:130], v[147:148], v[14:15]
	v_add_f64 v[20:21], v[20:21], v[127:128]
	v_fma_f64 v[127:128], v[48:49], s[20:21], -v[143:144]
	v_add_f64 v[14:15], v[131:132], v[12:13]
	v_fma_f64 v[12:13], v[119:120], s[34:35], v[149:150]
	v_mul_f64 v[131:132], v[113:114], s[12:13]
	v_mul_f64 v[133:134], v[52:53], s[28:29]
	v_add_f64 v[16:17], v[22:23], v[16:17]
	v_fma_f64 v[135:136], v[69:70], s[6:7], v[137:138]
	v_mul_f64 v[22:23], v[123:124], s[28:29]
	v_add_f64 v[20:21], v[127:128], v[20:21]
	v_fma_f64 v[127:128], v[40:41], s[0:1], -v[141:142]
	v_add_f64 v[12:13], v[2:3], v[12:13]
	v_fma_f64 v[137:138], v[79:80], s[16:17], v[131:132]
	v_fma_f64 v[143:144], v[97:98], s[26:27], v[133:134]
	v_mul_f64 v[141:142], v[111:112], s[2:3]
	v_add_f64 v[16:17], v[135:136], v[16:17]
	v_fma_f64 v[135:136], v[77:78], s[14:15], v[145:146]
	v_fma_f64 v[147:148], v[121:122], s[26:27], v[22:23]
	v_mul_f64 v[151:152], v[99:100], s[18:19]
	v_add_f64 v[20:21], v[127:128], v[20:21]
	v_add_f64 v[127:128], v[137:138], v[12:13]
	v_fma_f64 v[18:19], v[44:45], s[2:3], -v[18:19]
	v_add_f64 v[12:13], v[143:144], v[129:130]
	v_fma_f64 v[129:130], v[24:25], s[28:29], v[139:140]
	v_add_f64 v[16:17], v[135:136], v[16:17]
	v_fma_f64 v[137:138], v[75:76], s[24:25], v[141:142]
	v_mul_f64 v[145:146], v[103:104], s[30:31]
	v_add_f64 v[147:148], v[0:1], v[147:148]
	v_fma_f64 v[153:154], v[67:68], s[12:13], v[151:152]
	v_mul_f64 v[155:156], v[91:92], s[14:15]
	v_add_f64 v[20:21], v[18:19], v[20:21]
	v_mul_f64 v[143:144], v[87:88], s[38:39]
	v_add_f64 v[18:19], v[129:130], v[16:17]
	v_fma_f64 v[16:17], v[119:120], s[28:29], v[149:150]
	v_add_f64 v[127:128], v[137:138], v[127:128]
	v_fma_f64 v[135:136], v[69:70], s[40:41], v[145:146]
	;; [unrolled: 2-line block ×3, first 2 shown]
	v_fma_f64 v[133:134], v[97:98], s[26:27], -v[133:134]
	v_mul_f64 v[129:130], v[89:90], s[0:1]
	v_fma_f64 v[22:23], v[121:122], s[26:27], -v[22:23]
	v_fma_f64 v[131:132], v[79:80], s[18:19], v[131:132]
	v_add_f64 v[147:148], v[2:3], v[16:17]
	v_add_f64 v[127:128], v[135:136], v[127:128]
	v_mul_f64 v[153:154], v[95:96], s[20:21]
	v_add_f64 v[135:136], v[139:140], v[137:138]
	v_fma_f64 v[137:138], v[40:41], s[30:31], v[143:144]
	v_mul_f64 v[139:140], v[85:86], s[6:7]
	v_fma_f64 v[149:150], v[77:78], s[8:9], v[129:130]
	v_fma_f64 v[151:152], v[67:68], s[12:13], -v[151:152]
	v_add_f64 v[22:23], v[0:1], v[22:23]
	v_add_f64 v[16:17], v[133:134], v[20:21]
	;; [unrolled: 1-line block ×3, first 2 shown]
	v_fma_f64 v[131:132], v[75:76], s[14:15], v[141:142]
	v_add_f64 v[135:136], v[137:138], v[135:136]
	v_fma_f64 v[137:138], v[44:45], s[0:1], v[139:140]
	v_add_f64 v[127:128], v[149:150], v[127:128]
	;; [unrolled: 2-line block ×3, first 2 shown]
	v_fma_f64 v[147:148], v[48:49], s[2:3], -v[155:156]
	v_mul_f64 v[149:150], v[125:126], s[30:31]
	v_add_f64 v[20:21], v[131:132], v[20:21]
	v_fma_f64 v[131:132], v[69:70], s[38:39], v[145:146]
	v_mul_f64 v[145:146], v[123:124], s[38:39]
	v_add_f64 v[135:136], v[137:138], v[135:136]
	v_mul_f64 v[137:138], v[52:53], s[36:37]
	v_add_f64 v[22:23], v[133:134], v[127:128]
	v_add_f64 v[127:128], v[147:148], v[141:142]
	v_fma_f64 v[133:134], v[40:41], s[30:31], -v[143:144]
	v_fma_f64 v[143:144], v[119:120], s[40:41], v[149:150]
	v_mul_f64 v[147:148], v[113:114], s[0:1]
	v_add_f64 v[131:132], v[131:132], v[20:21]
	v_fma_f64 v[20:21], v[121:122], s[30:31], v[145:146]
	v_mul_f64 v[151:152], v[99:100], s[8:9]
	v_fma_f64 v[141:142], v[97:98], s[20:21], v[137:138]
	v_fma_f64 v[129:130], v[77:78], s[6:7], v[129:130]
	v_add_f64 v[127:128], v[133:134], v[127:128]
	v_fma_f64 v[133:134], v[44:45], s[0:1], -v[139:140]
	v_add_f64 v[139:140], v[2:3], v[143:144]
	v_fma_f64 v[143:144], v[79:80], s[6:7], v[147:148]
	v_add_f64 v[157:158], v[0:1], v[20:21]
	v_fma_f64 v[159:160], v[67:68], s[0:1], v[151:152]
	v_mul_f64 v[161:162], v[91:92], s[34:35]
	v_mul_f64 v[155:156], v[111:112], s[26:27]
	v_add_f64 v[20:21], v[141:142], v[135:136]
	v_add_f64 v[129:130], v[129:130], v[131:132]
	;; [unrolled: 1-line block ×4, first 2 shown]
	v_mul_f64 v[143:144], v[87:88], s[14:15]
	v_add_f64 v[139:140], v[159:160], v[157:158]
	v_fma_f64 v[141:142], v[48:49], s[26:27], v[161:162]
	v_fma_f64 v[133:134], v[75:76], s[28:29], v[155:156]
	v_mul_f64 v[135:136], v[103:104], s[2:3]
	v_fma_f64 v[149:150], v[119:120], s[38:39], v[149:150]
	v_mul_f64 v[159:160], v[85:86], s[22:23]
	v_fma_f64 v[153:154], v[24:25], s[36:37], v[153:154]
	v_fma_f64 v[137:138], v[97:98], s[20:21], -v[137:138]
	v_mul_f64 v[157:158], v[89:90], s[20:21]
	v_add_f64 v[139:140], v[141:142], v[139:140]
	v_fma_f64 v[141:142], v[40:41], s[2:3], v[143:144]
	v_add_f64 v[131:132], v[133:134], v[131:132]
	v_fma_f64 v[133:134], v[69:70], s[24:25], v[135:136]
	v_fma_f64 v[147:148], v[79:80], s[8:9], v[147:148]
	v_add_f64 v[149:150], v[2:3], v[149:150]
	v_add_f64 v[129:130], v[153:154], v[129:130]
	v_mul_f64 v[153:154], v[95:96], s[12:13]
	v_mul_f64 v[163:164], v[52:53], s[16:17]
	v_add_f64 v[139:140], v[141:142], v[139:140]
	v_fma_f64 v[141:142], v[44:45], s[20:21], v[159:160]
	v_add_f64 v[131:132], v[133:134], v[131:132]
	v_fma_f64 v[133:134], v[77:78], s[36:37], v[157:158]
	;; [unrolled: 2-line block ×3, first 2 shown]
	v_add_f64 v[127:128], v[137:138], v[127:128]
	v_mul_f64 v[155:156], v[125:126], s[20:21]
	v_fma_f64 v[135:136], v[69:70], s[14:15], v[135:136]
	v_add_f64 v[137:138], v[141:142], v[139:140]
	v_fma_f64 v[141:142], v[121:122], s[30:31], -v[145:146]
	v_add_f64 v[131:132], v[133:134], v[131:132]
	v_fma_f64 v[133:134], v[24:25], s[18:19], v[153:154]
	v_fma_f64 v[139:140], v[97:98], s[12:13], v[163:164]
	v_add_f64 v[145:146], v[149:150], v[147:148]
	v_mul_f64 v[147:148], v[123:124], s[22:23]
	v_fma_f64 v[149:150], v[119:120], s[36:37], v[155:156]
	v_mul_f64 v[165:166], v[113:114], s[26:27]
	v_fma_f64 v[151:152], v[67:68], s[0:1], -v[151:152]
	v_add_f64 v[141:142], v[0:1], v[141:142]
	v_add_f64 v[133:134], v[133:134], v[131:132]
	;; [unrolled: 1-line block ×4, first 2 shown]
	v_fma_f64 v[137:138], v[121:122], s[20:21], v[147:148]
	v_mul_f64 v[139:140], v[99:100], s[28:29]
	v_add_f64 v[145:146], v[2:3], v[149:150]
	v_fma_f64 v[149:150], v[79:80], s[34:35], v[165:166]
	v_mul_f64 v[167:168], v[111:112], s[0:1]
	v_add_f64 v[141:142], v[151:152], v[141:142]
	v_fma_f64 v[151:152], v[48:49], s[26:27], -v[161:162]
	v_fma_f64 v[157:158], v[77:78], s[22:23], v[157:158]
	v_add_f64 v[137:138], v[0:1], v[137:138]
	v_fma_f64 v[161:162], v[67:68], s[26:27], v[139:140]
	v_mul_f64 v[169:170], v[91:92], s[8:9]
	v_add_f64 v[145:146], v[149:150], v[145:146]
	v_fma_f64 v[149:150], v[75:76], s[6:7], v[167:168]
	v_mul_f64 v[171:172], v[103:104], s[12:13]
	v_add_f64 v[141:142], v[151:152], v[141:142]
	v_fma_f64 v[143:144], v[40:41], s[2:3], -v[143:144]
	v_add_f64 v[135:136], v[157:158], v[135:136]
	v_add_f64 v[137:138], v[161:162], v[137:138]
	v_fma_f64 v[151:152], v[48:49], s[0:1], v[169:170]
	v_mul_f64 v[157:158], v[87:88], s[18:19]
	v_add_f64 v[145:146], v[149:150], v[145:146]
	v_fma_f64 v[149:150], v[69:70], s[16:17], v[171:172]
	v_mul_f64 v[161:162], v[89:90], s[30:31]
	v_add_f64 v[141:142], v[143:144], v[141:142]
	v_fma_f64 v[143:144], v[44:45], s[20:21], -v[159:160]
	v_fma_f64 v[153:154], v[24:25], s[16:17], v[153:154]
	v_add_f64 v[151:152], v[151:152], v[137:138]
	v_fma_f64 v[159:160], v[40:41], s[12:13], v[157:158]
	v_mul_f64 v[173:174], v[85:86], s[40:41]
	v_add_f64 v[145:146], v[149:150], v[145:146]
	v_fma_f64 v[149:150], v[77:78], s[38:39], v[161:162]
	v_mul_f64 v[175:176], v[95:96], s[2:3]
	v_add_f64 v[141:142], v[143:144], v[141:142]
	v_fma_f64 v[143:144], v[97:98], s[12:13], -v[163:164]
	v_add_f64 v[137:138], v[153:154], v[135:136]
	v_add_f64 v[151:152], v[159:160], v[151:152]
	v_fma_f64 v[153:154], v[44:45], s[30:31], v[173:174]
	v_fma_f64 v[155:156], v[119:120], s[22:23], v[155:156]
	v_add_f64 v[145:146], v[149:150], v[145:146]
	v_fma_f64 v[149:150], v[24:25], s[24:25], v[175:176]
	v_mul_f64 v[159:160], v[52:53], s[14:15]
	v_add_f64 v[135:136], v[143:144], v[141:142]
	v_mul_f64 v[125:126], v[125:126], s[2:3]
	v_mul_f64 v[141:142], v[123:124], s[24:25]
	v_add_f64 v[143:144], v[153:154], v[151:152]
	v_add_f64 v[151:152], v[2:3], v[155:156]
	v_fma_f64 v[147:148], v[121:122], s[20:21], -v[147:148]
	v_add_f64 v[123:124], v[149:150], v[145:146]
	v_fma_f64 v[145:146], v[97:98], s[2:3], v[159:160]
	v_mul_f64 v[113:114], v[113:114], s[20:21]
	v_fma_f64 v[149:150], v[119:120], s[14:15], v[125:126]
	v_fma_f64 v[155:156], v[121:122], s[2:3], v[141:142]
	;; [unrolled: 1-line block ×3, first 2 shown]
	v_fma_f64 v[125:126], v[121:122], s[2:3], -v[141:142]
	v_fma_f64 v[153:154], v[79:80], s[28:29], v[165:166]
	v_mul_f64 v[111:112], v[111:112], s[30:31]
	v_add_f64 v[121:122], v[145:146], v[143:144]
	v_add_f64 v[143:144], v[0:1], v[147:148]
	;; [unrolled: 1-line block ×8, first 2 shown]
	v_mul_lo_u32 v150, s4, v64
	v_fma_f64 v[64:65], v[67:68], s[26:27], -v[139:140]
	v_mul_lo_u32 v149, s5, v63
	v_mad_u64_u32 v[117:118], s[4:5], s4, v63, 0
	v_add_f64 v[141:142], v[153:154], v[151:152]
	v_add_f64 v[0:1], v[109:110], v[0:1]
	;; [unrolled: 1-line block ×3, first 2 shown]
	v_fma_f64 v[107:108], v[48:49], s[0:1], -v[169:170]
	v_add_f64 v[63:64], v[64:65], v[143:144]
	v_fma_f64 v[109:110], v[79:80], s[36:37], v[113:114]
	v_fma_f64 v[79:80], v[79:80], s[22:23], v[113:114]
	;; [unrolled: 1-line block ×3, first 2 shown]
	v_mul_f64 v[103:104], v[103:104], s[26:27]
	v_add_f64 v[0:1], v[101:102], v[0:1]
	v_add_f64 v[2:3], v[93:94], v[2:3]
	v_mul_f64 v[93:94], v[99:100], s[22:23]
	v_add_f64 v[63:64], v[107:108], v[63:64]
	v_fma_f64 v[99:100], v[40:41], s[12:13], -v[157:158]
	v_add_f64 v[101:102], v[109:110], v[145:146]
	v_fma_f64 v[107:108], v[75:76], s[40:41], v[111:112]
	v_fma_f64 v[75:76], v[75:76], s[38:39], v[111:112]
	v_add_f64 v[0:1], v[83:84], v[0:1]
	v_add_f64 v[2:3], v[81:82], v[2:3]
	v_fma_f64 v[81:82], v[67:68], s[20:21], v[93:94]
	v_mul_f64 v[83:84], v[91:92], s[38:39]
	v_fma_f64 v[67:68], v[67:68], s[20:21], -v[93:94]
	v_add_f64 v[79:80], v[79:80], v[119:120]
	v_add_f64 v[115:116], v[151:152], v[141:142]
	v_fma_f64 v[141:142], v[69:70], s[18:19], v[171:172]
	v_add_f64 v[0:1], v[73:74], v[0:1]
	v_add_f64 v[2:3], v[71:72], v[2:3]
	;; [unrolled: 1-line block ×3, first 2 shown]
	v_fma_f64 v[73:74], v[48:49], s[30:31], v[83:84]
	v_mul_f64 v[81:82], v[87:88], s[28:29]
	v_fma_f64 v[48:49], v[48:49], s[30:31], -v[83:84]
	v_add_f64 v[67:68], v[67:68], v[125:126]
	v_add_f64 v[63:64], v[99:100], v[63:64]
	;; [unrolled: 1-line block ×6, first 2 shown]
	v_fma_f64 v[71:72], v[40:41], s[26:27], v[81:82]
	v_mul_f64 v[73:74], v[85:86], s[16:17]
	v_fma_f64 v[101:102], v[69:70], s[34:35], v[103:104]
	v_mul_f64 v[87:88], v[89:90], s[12:13]
	v_add_f64 v[0:1], v[56:57], v[0:1]
	v_add_f64 v[2:3], v[54:55], v[2:3]
	v_fma_f64 v[69:70], v[69:70], s[28:29], v[103:104]
	v_fma_f64 v[40:41], v[40:41], s[26:27], -v[81:82]
	v_add_f64 v[54:55], v[71:72], v[58:59]
	v_fma_f64 v[56:57], v[44:45], s[12:13], v[73:74]
	v_add_f64 v[48:49], v[48:49], v[67:68]
	v_mul_f64 v[52:53], v[52:53], s[8:9]
	v_add_f64 v[0:1], v[50:51], v[0:1]
	v_add_f64 v[2:3], v[46:47], v[2:3]
	;; [unrolled: 1-line block ×3, first 2 shown]
	v_fma_f64 v[91:92], v[44:45], s[30:31], -v[173:174]
	v_fma_f64 v[44:45], v[44:45], s[12:13], -v[73:74]
	v_add_f64 v[50:51], v[56:57], v[54:55]
	v_mul_f64 v[54:55], v[95:96], s[0:1]
	v_fma_f64 v[56:57], v[77:78], s[16:17], v[87:88]
	v_add_f64 v[0:1], v[42:43], v[0:1]
	v_add_f64 v[2:3], v[38:39], v[2:3]
	;; [unrolled: 1-line block ×5, first 2 shown]
	v_fma_f64 v[139:140], v[77:78], s[40:41], v[161:162]
	v_fma_f64 v[42:43], v[24:25], s[14:15], v[175:176]
	;; [unrolled: 1-line block ×3, first 2 shown]
	v_add_f64 v[0:1], v[36:37], v[0:1]
	v_add_f64 v[2:3], v[34:35], v[2:3]
	v_fma_f64 v[24:25], v[24:25], s[8:9], v[54:55]
	v_add_f64 v[36:37], v[56:57], v[38:39]
	v_fma_f64 v[38:39], v[97:98], s[0:1], v[52:53]
	v_fma_f64 v[48:49], v[97:98], s[0:1], -v[52:53]
	v_add_f64 v[40:41], v[44:45], v[40:41]
	v_add_f64 v[63:64], v[91:92], v[63:64]
	;; [unrolled: 1-line block ×5, first 2 shown]
	v_fma_f64 v[85:86], v[77:78], s[18:19], v[87:88]
	v_fma_f64 v[34:35], v[97:98], s[2:3], -v[159:160]
	v_add_f64 v[115:116], v[139:140], v[115:116]
	v_add3_u32 v118, v118, v150, v149
	v_add_f64 v[36:37], v[24:25], v[36:37]
	v_add_f64 v[24:25], v[28:29], v[52:53]
	v_lshlrev_b64 v[28:29], 4, v[117:118]
	v_add_f64 v[30:31], v[38:39], v[50:51]
	v_add_f64 v[26:27], v[26:27], v[44:45]
	v_mov_b32_e32 v38, s11
	v_add_co_u32_e32 v39, vcc, s10, v28
	v_add_f64 v[58:59], v[85:86], v[89:90]
	v_add_f64 v[0:1], v[34:35], v[63:64]
	;; [unrolled: 1-line block ×3, first 2 shown]
	v_addc_co_u32_e32 v38, vcc, v38, v29, vcc
	v_lshlrev_b64 v[28:29], 4, v[60:61]
	v_add_f64 v[2:3], v[42:43], v[115:116]
	v_mov_b32_e32 v63, v66
	v_add_co_u32_e32 v39, vcc, v39, v28
	v_addc_co_u32_e32 v38, vcc, v38, v29, vcc
	v_lshlrev_b64 v[28:29], 4, v[62:63]
	s_movk_i32 s0, 0x1000
	v_add_co_u32_e32 v28, vcc, v39, v28
	v_addc_co_u32_e32 v29, vcc, v38, v29, vcc
	global_store_dwordx4 v[28:29], v[24:27], off
	global_store_dwordx4 v[28:29], v[34:37], off offset:1600
	global_store_dwordx4 v[28:29], v[0:3], off offset:3200
	v_add_f64 v[32:33], v[46:47], v[58:59]
	v_add_co_u32_e32 v0, vcc, s0, v28
	v_addc_co_u32_e32 v1, vcc, 0, v29, vcc
	s_movk_i32 s0, 0x2000
	global_store_dwordx4 v[0:1], v[135:138], off offset:704
	global_store_dwordx4 v[0:1], v[127:130], off offset:2304
	;; [unrolled: 1-line block ×3, first 2 shown]
	v_add_co_u32_e32 v0, vcc, s0, v28
	v_addc_co_u32_e32 v1, vcc, 0, v29, vcc
	s_movk_i32 s0, 0x3000
	global_store_dwordx4 v[0:1], v[8:11], off offset:1408
	global_store_dwordx4 v[0:1], v[4:7], off offset:3008
	v_add_co_u32_e32 v0, vcc, s0, v28
	v_addc_co_u32_e32 v1, vcc, 0, v29, vcc
	global_store_dwordx4 v[0:1], v[12:15], off offset:512
	global_store_dwordx4 v[0:1], v[20:23], off offset:2112
	;; [unrolled: 1-line block ×3, first 2 shown]
	v_add_co_u32_e32 v0, vcc, 0x4000, v28
	v_addc_co_u32_e32 v1, vcc, 0, v29, vcc
	global_store_dwordx4 v[0:1], v[121:124], off offset:1216
	global_store_dwordx4 v[0:1], v[30:33], off offset:2816
.LBB0_17:
	s_endpgm
	.section	.rodata,"a",@progbits
	.p2align	6, 0x0
	.amdhsa_kernel fft_rtc_fwd_len1300_factors_10_10_13_wgs_130_tpt_130_dp_op_CI_CI_unitstride_sbrr_dirReg
		.amdhsa_group_segment_fixed_size 0
		.amdhsa_private_segment_fixed_size 0
		.amdhsa_kernarg_size 104
		.amdhsa_user_sgpr_count 6
		.amdhsa_user_sgpr_private_segment_buffer 1
		.amdhsa_user_sgpr_dispatch_ptr 0
		.amdhsa_user_sgpr_queue_ptr 0
		.amdhsa_user_sgpr_kernarg_segment_ptr 1
		.amdhsa_user_sgpr_dispatch_id 0
		.amdhsa_user_sgpr_flat_scratch_init 0
		.amdhsa_user_sgpr_private_segment_size 0
		.amdhsa_uses_dynamic_stack 0
		.amdhsa_system_sgpr_private_segment_wavefront_offset 0
		.amdhsa_system_sgpr_workgroup_id_x 1
		.amdhsa_system_sgpr_workgroup_id_y 0
		.amdhsa_system_sgpr_workgroup_id_z 0
		.amdhsa_system_sgpr_workgroup_info 0
		.amdhsa_system_vgpr_workitem_id 0
		.amdhsa_next_free_vgpr 177
		.amdhsa_next_free_sgpr 42
		.amdhsa_reserve_vcc 1
		.amdhsa_reserve_flat_scratch 0
		.amdhsa_float_round_mode_32 0
		.amdhsa_float_round_mode_16_64 0
		.amdhsa_float_denorm_mode_32 3
		.amdhsa_float_denorm_mode_16_64 3
		.amdhsa_dx10_clamp 1
		.amdhsa_ieee_mode 1
		.amdhsa_fp16_overflow 0
		.amdhsa_exception_fp_ieee_invalid_op 0
		.amdhsa_exception_fp_denorm_src 0
		.amdhsa_exception_fp_ieee_div_zero 0
		.amdhsa_exception_fp_ieee_overflow 0
		.amdhsa_exception_fp_ieee_underflow 0
		.amdhsa_exception_fp_ieee_inexact 0
		.amdhsa_exception_int_div_zero 0
	.end_amdhsa_kernel
	.text
.Lfunc_end0:
	.size	fft_rtc_fwd_len1300_factors_10_10_13_wgs_130_tpt_130_dp_op_CI_CI_unitstride_sbrr_dirReg, .Lfunc_end0-fft_rtc_fwd_len1300_factors_10_10_13_wgs_130_tpt_130_dp_op_CI_CI_unitstride_sbrr_dirReg
                                        ; -- End function
	.section	.AMDGPU.csdata,"",@progbits
; Kernel info:
; codeLenInByte = 9172
; NumSgprs: 46
; NumVgprs: 177
; ScratchSize: 0
; MemoryBound: 1
; FloatMode: 240
; IeeeMode: 1
; LDSByteSize: 0 bytes/workgroup (compile time only)
; SGPRBlocks: 5
; VGPRBlocks: 44
; NumSGPRsForWavesPerEU: 46
; NumVGPRsForWavesPerEU: 177
; Occupancy: 1
; WaveLimiterHint : 1
; COMPUTE_PGM_RSRC2:SCRATCH_EN: 0
; COMPUTE_PGM_RSRC2:USER_SGPR: 6
; COMPUTE_PGM_RSRC2:TRAP_HANDLER: 0
; COMPUTE_PGM_RSRC2:TGID_X_EN: 1
; COMPUTE_PGM_RSRC2:TGID_Y_EN: 0
; COMPUTE_PGM_RSRC2:TGID_Z_EN: 0
; COMPUTE_PGM_RSRC2:TIDIG_COMP_CNT: 0
	.type	__hip_cuid_f27d3f58e0019a47,@object ; @__hip_cuid_f27d3f58e0019a47
	.section	.bss,"aw",@nobits
	.globl	__hip_cuid_f27d3f58e0019a47
__hip_cuid_f27d3f58e0019a47:
	.byte	0                               ; 0x0
	.size	__hip_cuid_f27d3f58e0019a47, 1

	.ident	"AMD clang version 19.0.0git (https://github.com/RadeonOpenCompute/llvm-project roc-6.4.0 25133 c7fe45cf4b819c5991fe208aaa96edf142730f1d)"
	.section	".note.GNU-stack","",@progbits
	.addrsig
	.addrsig_sym __hip_cuid_f27d3f58e0019a47
	.amdgpu_metadata
---
amdhsa.kernels:
  - .args:
      - .actual_access:  read_only
        .address_space:  global
        .offset:         0
        .size:           8
        .value_kind:     global_buffer
      - .offset:         8
        .size:           8
        .value_kind:     by_value
      - .actual_access:  read_only
        .address_space:  global
        .offset:         16
        .size:           8
        .value_kind:     global_buffer
      - .actual_access:  read_only
        .address_space:  global
        .offset:         24
        .size:           8
        .value_kind:     global_buffer
      - .actual_access:  read_only
        .address_space:  global
        .offset:         32
        .size:           8
        .value_kind:     global_buffer
      - .offset:         40
        .size:           8
        .value_kind:     by_value
      - .actual_access:  read_only
        .address_space:  global
        .offset:         48
        .size:           8
        .value_kind:     global_buffer
      - .actual_access:  read_only
        .address_space:  global
        .offset:         56
        .size:           8
        .value_kind:     global_buffer
      - .offset:         64
        .size:           4
        .value_kind:     by_value
      - .actual_access:  read_only
        .address_space:  global
        .offset:         72
        .size:           8
        .value_kind:     global_buffer
      - .actual_access:  read_only
        .address_space:  global
        .offset:         80
        .size:           8
        .value_kind:     global_buffer
      - .actual_access:  read_only
        .address_space:  global
        .offset:         88
        .size:           8
        .value_kind:     global_buffer
      - .actual_access:  write_only
        .address_space:  global
        .offset:         96
        .size:           8
        .value_kind:     global_buffer
    .group_segment_fixed_size: 0
    .kernarg_segment_align: 8
    .kernarg_segment_size: 104
    .language:       OpenCL C
    .language_version:
      - 2
      - 0
    .max_flat_workgroup_size: 130
    .name:           fft_rtc_fwd_len1300_factors_10_10_13_wgs_130_tpt_130_dp_op_CI_CI_unitstride_sbrr_dirReg
    .private_segment_fixed_size: 0
    .sgpr_count:     46
    .sgpr_spill_count: 0
    .symbol:         fft_rtc_fwd_len1300_factors_10_10_13_wgs_130_tpt_130_dp_op_CI_CI_unitstride_sbrr_dirReg.kd
    .uniform_work_group_size: 1
    .uses_dynamic_stack: false
    .vgpr_count:     177
    .vgpr_spill_count: 0
    .wavefront_size: 64
amdhsa.target:   amdgcn-amd-amdhsa--gfx906
amdhsa.version:
  - 1
  - 2
...

	.end_amdgpu_metadata
